;; amdgpu-corpus repo=ROCm/rocFFT kind=compiled arch=gfx906 opt=O3
	.text
	.amdgcn_target "amdgcn-amd-amdhsa--gfx906"
	.amdhsa_code_object_version 6
	.protected	fft_rtc_fwd_len84_factors_7_2_6_wgs_336_tpt_14_half_op_CI_CI_sbcc_twdbase8_3step ; -- Begin function fft_rtc_fwd_len84_factors_7_2_6_wgs_336_tpt_14_half_op_CI_CI_sbcc_twdbase8_3step
	.globl	fft_rtc_fwd_len84_factors_7_2_6_wgs_336_tpt_14_half_op_CI_CI_sbcc_twdbase8_3step
	.p2align	8
	.type	fft_rtc_fwd_len84_factors_7_2_6_wgs_336_tpt_14_half_op_CI_CI_sbcc_twdbase8_3step,@function
fft_rtc_fwd_len84_factors_7_2_6_wgs_336_tpt_14_half_op_CI_CI_sbcc_twdbase8_3step: ; @fft_rtc_fwd_len84_factors_7_2_6_wgs_336_tpt_14_half_op_CI_CI_sbcc_twdbase8_3step
; %bb.0:
	s_load_dwordx4 s[0:3], s[4:5], 0x18
	s_load_dwordx2 s[30:31], s[4:5], 0x28
	s_mov_b32 s7, 0
	s_mov_b64 s[24:25], 0
	s_waitcnt lgkmcnt(0)
	s_load_dwordx2 s[28:29], s[0:1], 0x8
	s_waitcnt lgkmcnt(0)
	s_add_u32 s8, s28, -1
	s_addc_u32 s9, s29, -1
	s_add_u32 s10, 0, 0xaaaa0000
	s_addc_u32 s11, 0, 42
	s_mul_hi_u32 s13, s10, 0xffffffe8
	s_add_i32 s11, s11, 0xaaaaa80
	s_sub_i32 s13, s13, s10
	s_mul_i32 s16, s11, 0xffffffe8
	s_mul_i32 s12, s10, 0xffffffe8
	s_add_i32 s13, s13, s16
	s_mul_hi_u32 s14, s11, s12
	s_mul_i32 s15, s11, s12
	s_mul_i32 s17, s10, s13
	s_mul_hi_u32 s12, s10, s12
	s_mul_hi_u32 s16, s10, s13
	s_add_u32 s12, s12, s17
	s_addc_u32 s16, 0, s16
	s_add_u32 s12, s12, s15
	s_mul_hi_u32 s17, s11, s13
	s_addc_u32 s12, s16, s14
	s_addc_u32 s14, s17, 0
	s_mul_i32 s13, s11, s13
	s_add_u32 s12, s12, s13
	v_mov_b32_e32 v1, s12
	s_addc_u32 s13, 0, s14
	v_add_co_u32_e32 v1, vcc, s10, v1
	s_cmp_lg_u64 vcc, 0
	s_addc_u32 s10, s11, s13
	v_readfirstlane_b32 s13, v1
	s_mul_i32 s12, s8, s10
	s_mul_hi_u32 s14, s8, s13
	s_mul_hi_u32 s11, s8, s10
	s_add_u32 s12, s14, s12
	s_addc_u32 s11, 0, s11
	s_mul_hi_u32 s15, s9, s13
	s_mul_i32 s13, s9, s13
	s_add_u32 s12, s12, s13
	s_mul_hi_u32 s14, s9, s10
	s_addc_u32 s11, s11, s15
	s_addc_u32 s12, s14, 0
	s_mul_i32 s10, s9, s10
	s_add_u32 s10, s11, s10
	s_addc_u32 s11, 0, s12
	s_add_u32 s12, s10, 1
	s_addc_u32 s13, s11, 0
	s_add_u32 s14, s10, 2
	s_mul_i32 s16, s11, 24
	s_mul_hi_u32 s17, s10, 24
	s_addc_u32 s15, s11, 0
	s_add_i32 s17, s17, s16
	s_mul_i32 s16, s10, 24
	v_mov_b32_e32 v1, s16
	v_sub_co_u32_e32 v1, vcc, s8, v1
	s_cmp_lg_u64 vcc, 0
	s_subb_u32 s8, s9, s17
	v_subrev_co_u32_e32 v2, vcc, 24, v1
	s_cmp_lg_u64 vcc, 0
	s_subb_u32 s9, s8, 0
	v_readfirstlane_b32 s16, v2
	s_cmp_gt_u32 s16, 23
	s_cselect_b32 s16, -1, 0
	s_cmp_eq_u32 s9, 0
	s_cselect_b32 s9, s16, -1
	s_cmp_lg_u32 s9, 0
	s_cselect_b32 s9, s14, s12
	s_cselect_b32 s12, s15, s13
	v_readfirstlane_b32 s13, v1
	s_cmp_gt_u32 s13, 23
	s_cselect_b32 s13, -1, 0
	s_cmp_eq_u32 s8, 0
	s_cselect_b32 s8, s13, -1
	s_cmp_lg_u32 s8, 0
	s_cselect_b32 s9, s9, s10
	s_cselect_b32 s8, s12, s11
	s_add_u32 s36, s9, 1
	s_addc_u32 s37, s8, 0
	v_mov_b32_e32 v1, s36
	v_mov_b32_e32 v2, s37
	v_cmp_lt_u64_e32 vcc, s[6:7], v[1:2]
	s_cbranch_vccnz .LBB0_2
; %bb.1:
	v_cvt_f32_u32_e32 v1, s36
	s_sub_i32 s8, 0, s36
	s_mov_b32 s25, s7
	v_rcp_iflag_f32_e32 v1, v1
	v_mul_f32_e32 v1, 0x4f7ffffe, v1
	v_cvt_u32_f32_e32 v1, v1
	v_readfirstlane_b32 s9, v1
	s_mul_i32 s8, s8, s9
	s_mul_hi_u32 s8, s9, s8
	s_add_i32 s9, s9, s8
	s_mul_hi_u32 s8, s6, s9
	s_mul_i32 s10, s8, s36
	s_sub_i32 s10, s6, s10
	s_add_i32 s9, s8, 1
	s_sub_i32 s11, s10, s36
	s_cmp_ge_u32 s10, s36
	s_cselect_b32 s8, s9, s8
	s_cselect_b32 s10, s11, s10
	s_add_i32 s9, s8, 1
	s_cmp_ge_u32 s10, s36
	s_cselect_b32 s24, s9, s8
.LBB0_2:
	s_load_dwordx4 s[12:15], s[4:5], 0x60
	s_load_dwordx4 s[20:23], s[2:3], 0x0
	;; [unrolled: 1-line block ×3, first 2 shown]
	s_load_dwordx2 s[26:27], s[4:5], 0x0
	s_load_dwordx4 s[16:19], s[4:5], 0x8
	s_mul_i32 s4, s24, s37
	s_mul_hi_u32 s5, s24, s36
	s_add_i32 s5, s5, s4
	s_mul_i32 s4, s24, s36
	s_sub_u32 s52, s6, s4
	s_subb_u32 s4, 0, s5
	s_mul_i32 s4, s4, 24
	s_mul_hi_u32 s33, s52, 24
	s_add_i32 s33, s33, s4
	s_mul_i32 s52, s52, 24
	s_waitcnt lgkmcnt(0)
	s_mul_i32 s4, s22, s33
	s_mul_hi_u32 s5, s22, s52
	s_add_i32 s4, s5, s4
	s_mul_i32 s5, s23, s52
	s_add_i32 s35, s4, s5
	s_mul_i32 s4, s10, s33
	s_mul_hi_u32 s5, s10, s52
	v_cmp_lt_u64_e64 s[38:39], s[18:19], 3
	s_add_i32 s4, s5, s4
	s_mul_i32 s5, s11, s52
	s_mul_i32 s34, s22, s52
	s_add_i32 s5, s4, s5
	s_mul_i32 s4, s10, s52
	s_and_b64 vcc, exec, s[38:39]
	s_cbranch_vccnz .LBB0_12
; %bb.3:
	s_add_u32 s38, s30, 16
	s_addc_u32 s39, s31, 0
	s_add_u32 s40, s2, 16
	s_addc_u32 s41, s3, 0
	s_add_u32 s42, s0, 16
	v_mov_b32_e32 v1, s18
	s_addc_u32 s43, s1, 0
	s_mov_b64 s[44:45], 2
	s_mov_b32 s46, 0
	v_mov_b32_e32 v2, s19
.LBB0_4:                                ; =>This Inner Loop Header: Depth=1
	s_load_dwordx2 s[48:49], s[42:43], 0x0
	s_waitcnt lgkmcnt(0)
	s_or_b64 s[0:1], s[24:25], s[48:49]
	s_mov_b32 s47, s1
	s_cmp_lg_u64 s[46:47], 0
	s_cbranch_scc0 .LBB0_9
; %bb.5:                                ;   in Loop: Header=BB0_4 Depth=1
	v_cvt_f32_u32_e32 v3, s48
	v_cvt_f32_u32_e32 v4, s49
	s_sub_u32 s0, 0, s48
	s_subb_u32 s1, 0, s49
	v_mac_f32_e32 v3, 0x4f800000, v4
	v_rcp_f32_e32 v3, v3
	v_mul_f32_e32 v3, 0x5f7ffffc, v3
	v_mul_f32_e32 v4, 0x2f800000, v3
	v_trunc_f32_e32 v4, v4
	v_mac_f32_e32 v3, 0xcf800000, v4
	v_cvt_u32_f32_e32 v4, v4
	v_cvt_u32_f32_e32 v3, v3
	v_readfirstlane_b32 s47, v4
	v_readfirstlane_b32 s50, v3
	s_mul_i32 s51, s0, s47
	s_mul_hi_u32 s54, s0, s50
	s_mul_i32 s53, s1, s50
	s_add_i32 s51, s54, s51
	s_mul_i32 s55, s0, s50
	s_add_i32 s51, s51, s53
	s_mul_hi_u32 s53, s50, s51
	s_mul_i32 s54, s50, s51
	s_mul_hi_u32 s50, s50, s55
	s_add_u32 s50, s50, s54
	s_addc_u32 s53, 0, s53
	s_mul_hi_u32 s56, s47, s55
	s_mul_i32 s55, s47, s55
	s_add_u32 s50, s50, s55
	s_mul_hi_u32 s54, s47, s51
	s_addc_u32 s50, s53, s56
	s_addc_u32 s53, s54, 0
	s_mul_i32 s51, s47, s51
	s_add_u32 s50, s50, s51
	s_addc_u32 s51, 0, s53
	v_add_co_u32_e32 v3, vcc, s50, v3
	s_cmp_lg_u64 vcc, 0
	s_addc_u32 s47, s47, s51
	v_readfirstlane_b32 s51, v3
	s_mul_i32 s50, s0, s47
	s_mul_hi_u32 s53, s0, s51
	s_add_i32 s50, s53, s50
	s_mul_i32 s1, s1, s51
	s_add_i32 s50, s50, s1
	s_mul_i32 s0, s0, s51
	s_mul_hi_u32 s53, s47, s0
	s_mul_i32 s54, s47, s0
	s_mul_i32 s56, s51, s50
	s_mul_hi_u32 s0, s51, s0
	s_mul_hi_u32 s55, s51, s50
	s_add_u32 s0, s0, s56
	s_addc_u32 s51, 0, s55
	s_add_u32 s0, s0, s54
	s_mul_hi_u32 s1, s47, s50
	s_addc_u32 s0, s51, s53
	s_addc_u32 s1, s1, 0
	s_mul_i32 s50, s47, s50
	s_add_u32 s0, s0, s50
	s_addc_u32 s1, 0, s1
	v_add_co_u32_e32 v3, vcc, s0, v3
	s_cmp_lg_u64 vcc, 0
	s_addc_u32 s0, s47, s1
	v_readfirstlane_b32 s50, v3
	s_mul_i32 s47, s24, s0
	s_mul_hi_u32 s51, s24, s50
	s_mul_hi_u32 s1, s24, s0
	s_add_u32 s47, s51, s47
	s_addc_u32 s1, 0, s1
	s_mul_hi_u32 s53, s25, s50
	s_mul_i32 s50, s25, s50
	s_add_u32 s47, s47, s50
	s_mul_hi_u32 s51, s25, s0
	s_addc_u32 s1, s1, s53
	s_addc_u32 s47, s51, 0
	s_mul_i32 s0, s25, s0
	s_add_u32 s50, s1, s0
	s_addc_u32 s47, 0, s47
	s_mul_i32 s0, s48, s47
	s_mul_hi_u32 s1, s48, s50
	s_add_i32 s0, s1, s0
	s_mul_i32 s1, s49, s50
	s_add_i32 s51, s0, s1
	s_mul_i32 s1, s48, s50
	v_mov_b32_e32 v3, s1
	s_sub_i32 s0, s25, s51
	v_sub_co_u32_e32 v3, vcc, s24, v3
	s_cmp_lg_u64 vcc, 0
	s_subb_u32 s53, s0, s49
	v_subrev_co_u32_e64 v4, s[0:1], s48, v3
	s_cmp_lg_u64 s[0:1], 0
	s_subb_u32 s0, s53, 0
	s_cmp_ge_u32 s0, s49
	v_readfirstlane_b32 s53, v4
	s_cselect_b32 s1, -1, 0
	s_cmp_ge_u32 s53, s48
	s_cselect_b32 s53, -1, 0
	s_cmp_eq_u32 s0, s49
	s_cselect_b32 s0, s53, s1
	s_add_u32 s1, s50, 1
	s_addc_u32 s53, s47, 0
	s_add_u32 s54, s50, 2
	s_addc_u32 s55, s47, 0
	s_cmp_lg_u32 s0, 0
	s_cselect_b32 s0, s54, s1
	s_cselect_b32 s1, s55, s53
	s_cmp_lg_u64 vcc, 0
	s_subb_u32 s51, s25, s51
	s_cmp_ge_u32 s51, s49
	v_readfirstlane_b32 s54, v3
	s_cselect_b32 s53, -1, 0
	s_cmp_ge_u32 s54, s48
	s_cselect_b32 s54, -1, 0
	s_cmp_eq_u32 s51, s49
	s_cselect_b32 s51, s54, s53
	s_cmp_lg_u32 s51, 0
	s_cselect_b32 s1, s1, s47
	s_cselect_b32 s0, s0, s50
	s_cbranch_execnz .LBB0_7
.LBB0_6:                                ;   in Loop: Header=BB0_4 Depth=1
	v_cvt_f32_u32_e32 v3, s48
	s_sub_i32 s0, 0, s48
	v_rcp_iflag_f32_e32 v3, v3
	v_mul_f32_e32 v3, 0x4f7ffffe, v3
	v_cvt_u32_f32_e32 v3, v3
	v_readfirstlane_b32 s1, v3
	s_mul_i32 s0, s0, s1
	s_mul_hi_u32 s0, s1, s0
	s_add_i32 s1, s1, s0
	s_mul_hi_u32 s0, s24, s1
	s_mul_i32 s47, s0, s48
	s_sub_i32 s47, s24, s47
	s_add_i32 s1, s0, 1
	s_sub_i32 s50, s47, s48
	s_cmp_ge_u32 s47, s48
	s_cselect_b32 s0, s1, s0
	s_cselect_b32 s47, s50, s47
	s_add_i32 s1, s0, 1
	s_cmp_ge_u32 s47, s48
	s_cselect_b32 s0, s1, s0
	s_mov_b32 s1, s46
.LBB0_7:                                ;   in Loop: Header=BB0_4 Depth=1
	s_mul_i32 s37, s48, s37
	s_mul_hi_u32 s47, s48, s36
	s_add_i32 s37, s47, s37
	s_mul_i32 s47, s49, s36
	s_add_i32 s37, s37, s47
	s_mul_i32 s47, s0, s49
	s_mul_hi_u32 s49, s0, s48
	s_load_dwordx2 s[50:51], s[40:41], 0x0
	s_add_i32 s47, s49, s47
	s_mul_i32 s49, s1, s48
	s_mul_i32 s36, s48, s36
	s_add_i32 s47, s47, s49
	s_mul_i32 s48, s0, s48
	s_sub_u32 s48, s24, s48
	s_subb_u32 s47, s25, s47
	s_waitcnt lgkmcnt(0)
	s_mul_i32 s24, s50, s47
	s_mul_hi_u32 s25, s50, s48
	s_add_i32 s49, s25, s24
	s_load_dwordx2 s[24:25], s[38:39], 0x0
	s_mul_i32 s51, s51, s48
	s_add_i32 s49, s49, s51
	s_mul_i32 s50, s50, s48
	s_add_u32 s34, s50, s34
	s_addc_u32 s35, s49, s35
	s_waitcnt lgkmcnt(0)
	s_mul_i32 s47, s24, s47
	s_mul_hi_u32 s49, s24, s48
	s_add_i32 s47, s49, s47
	s_mul_i32 s25, s25, s48
	s_add_i32 s47, s47, s25
	s_mul_i32 s24, s24, s48
	s_add_u32 s4, s24, s4
	s_addc_u32 s5, s47, s5
	s_add_u32 s44, s44, 1
	s_addc_u32 s45, s45, 0
	;; [unrolled: 2-line block ×4, first 2 shown]
	v_cmp_ge_u64_e32 vcc, s[44:45], v[1:2]
	s_add_u32 s42, s42, 8
	s_addc_u32 s43, s43, 0
	s_cbranch_vccnz .LBB0_10
; %bb.8:                                ;   in Loop: Header=BB0_4 Depth=1
	s_mov_b64 s[24:25], s[0:1]
	s_branch .LBB0_4
.LBB0_9:                                ;   in Loop: Header=BB0_4 Depth=1
                                        ; implicit-def: $sgpr0_sgpr1
	s_branch .LBB0_6
.LBB0_10:
	v_mov_b32_e32 v1, s36
	v_mov_b32_e32 v2, s37
	v_cmp_lt_u64_e32 vcc, s[6:7], v[1:2]
	s_mov_b64 s[24:25], 0
	s_cbranch_vccnz .LBB0_12
; %bb.11:
	v_cvt_f32_u32_e32 v1, s36
	s_sub_i32 s0, 0, s36
	v_rcp_iflag_f32_e32 v1, v1
	v_mul_f32_e32 v1, 0x4f7ffffe, v1
	v_cvt_u32_f32_e32 v1, v1
	v_readfirstlane_b32 s1, v1
	s_mul_i32 s0, s0, s1
	s_mul_hi_u32 s0, s1, s0
	s_add_i32 s1, s1, s0
	s_mul_hi_u32 s0, s6, s1
	s_mul_i32 s7, s0, s36
	s_sub_i32 s6, s6, s7
	s_add_i32 s1, s0, 1
	s_sub_i32 s7, s6, s36
	s_cmp_ge_u32 s6, s36
	s_cselect_b32 s0, s1, s0
	s_cselect_b32 s6, s7, s6
	s_add_i32 s1, s0, 1
	s_cmp_ge_u32 s6, s36
	s_cselect_b32 s24, s1, s0
.LBB0_12:
	s_lshl_b64 s[36:37], s[18:19], 3
	s_add_u32 s6, s30, s36
	s_addc_u32 s7, s31, s37
	s_add_u32 s0, s52, 24
	v_mov_b32_e32 v1, s28
	s_addc_u32 s1, s33, 0
	v_mov_b32_e32 v2, s29
	v_cmp_le_u64_e32 vcc, s[0:1], v[1:2]
	v_mul_u32_u24_e32 v1, 0xaab, v0
	v_lshrrev_b32_e32 v6, 16, v1
	v_mul_lo_u16_e32 v1, 24, v6
	v_sub_u16_e32 v11, v0, v1
	v_mov_b32_e32 v2, s33
	v_add_co_u32_e64 v1, s[0:1], s52, v11
	v_addc_co_u32_e64 v2, s[0:1], 0, v2, s[0:1]
	v_cmp_gt_u64_e64 s[0:1], s[28:29], v[1:2]
	v_lshlrev_b32_e32 v12, 2, v6
	s_or_b64 s[0:1], vcc, s[0:1]
	v_add_u32_e32 v10, 14, v6
	v_add_u32_e32 v9, 28, v6
	;; [unrolled: 1-line block ×4, first 2 shown]
	s_and_saveexec_b64 s[18:19], s[0:1]
	s_cbranch_execz .LBB0_14
; %bb.13:
	s_add_u32 s2, s2, s36
	s_addc_u32 s3, s3, s37
	s_load_dwordx2 s[2:3], s[2:3], 0x0
	v_mad_u64_u32 v[1:2], s[28:29], s22, v11, 0
	v_mad_u64_u32 v[3:4], s[28:29], s20, v6, 0
	s_waitcnt lgkmcnt(0)
	s_mul_i32 s3, s3, s24
	s_mul_hi_u32 s25, s2, s24
	s_add_i32 s3, s25, s3
	s_mul_i32 s2, s2, s24
	s_lshl_b64 s[2:3], s[2:3], 2
	v_mad_u64_u32 v[13:14], s[22:23], s23, v11, v[2:3]
	s_add_u32 s12, s12, s2
	s_addc_u32 s13, s13, s3
	s_lshl_b64 s[2:3], s[34:35], 2
	v_mov_b32_e32 v2, v4
	s_add_u32 s12, s12, s2
	v_mad_u64_u32 v[4:5], s[22:23], s21, v6, v[2:3]
	s_addc_u32 s2, s13, s3
	v_mov_b32_e32 v2, v13
	v_mov_b32_e32 v5, s2
	v_mad_u64_u32 v[13:14], s[2:3], s20, v10, 0
	v_lshlrev_b64 v[1:2], 2, v[1:2]
	v_add_co_u32_e32 v21, vcc, s12, v1
	v_addc_co_u32_e32 v22, vcc, v5, v2, vcc
	v_lshlrev_b64 v[1:2], 2, v[3:4]
	v_mov_b32_e32 v3, v14
	v_mad_u64_u32 v[3:4], s[2:3], s21, v10, v[3:4]
	v_mad_u64_u32 v[4:5], s[2:3], s20, v9, 0
	v_mov_b32_e32 v14, v3
	v_add_co_u32_e32 v1, vcc, v21, v1
	v_mov_b32_e32 v3, v5
	v_mad_u64_u32 v[15:16], s[2:3], s21, v9, v[3:4]
	v_mad_u64_u32 v[16:17], s[2:3], s20, v8, 0
	v_mov_b32_e32 v5, v15
	v_lshlrev_b64 v[3:4], 2, v[4:5]
	v_mov_b32_e32 v5, v17
	v_mad_u64_u32 v[17:18], s[2:3], s21, v8, v[5:6]
	v_lshlrev_b64 v[13:14], 2, v[13:14]
	v_addc_co_u32_e32 v2, vcc, v22, v2, vcc
	v_lshlrev_b64 v[15:16], 2, v[16:17]
	v_mad_u64_u32 v[17:18], s[2:3], s20, v7, 0
	v_add_co_u32_e32 v13, vcc, v21, v13
	v_mov_b32_e32 v5, v18
	v_mad_u64_u32 v[18:19], s[2:3], s21, v7, v[5:6]
	v_add_u32_e32 v5, 0x46, v6
	v_addc_co_u32_e32 v14, vcc, v22, v14, vcc
	v_mad_u64_u32 v[19:20], s[2:3], s20, v5, 0
	v_add_co_u32_e32 v3, vcc, v21, v3
	v_addc_co_u32_e32 v4, vcc, v22, v4, vcc
	v_add_co_u32_e32 v15, vcc, v21, v15
	v_addc_co_u32_e32 v16, vcc, v22, v16, vcc
	global_load_dword v23, v[1:2], off
	global_load_dword v24, v[13:14], off
	;; [unrolled: 1-line block ×4, first 2 shown]
	v_mov_b32_e32 v3, v20
	v_mad_u64_u32 v[3:4], s[2:3], s21, v5, v[3:4]
	v_lshlrev_b64 v[1:2], 2, v[17:18]
	v_mov_b32_e32 v20, v3
	v_add_co_u32_e32 v1, vcc, v21, v1
	v_lshlrev_b64 v[3:4], 2, v[19:20]
	v_addc_co_u32_e32 v2, vcc, v22, v2, vcc
	v_add_co_u32_e32 v3, vcc, v21, v3
	v_addc_co_u32_e32 v4, vcc, v22, v4, vcc
	global_load_dword v5, v[1:2], off
	global_load_dword v13, v[3:4], off
	v_mul_u32_u24_e32 v1, 0x150, v11
	v_add3_u32 v1, 0, v1, v12
	s_waitcnt vmcnt(4)
	ds_write2_b32 v1, v23, v24 offset1:14
	s_waitcnt vmcnt(2)
	ds_write2_b32 v1, v25, v26 offset0:28 offset1:42
	s_waitcnt vmcnt(0)
	ds_write2_b32 v1, v5, v13 offset0:56 offset1:70
.LBB0_14:
	s_or_b64 exec, exec, s[18:19]
	s_movk_i32 s2, 0x124a
	v_mul_u32_u24_sdwa v1, v0, s2 dst_sel:DWORD dst_unused:UNUSED_PAD src0_sel:WORD_0 src1_sel:DWORD
	s_add_u32 s2, 0, 0xaaaa0000
	s_addc_u32 s3, 0, 42
	s_add_i32 s3, s3, 0xaaaaa80
	s_mul_hi_u32 s19, s2, 0xffffffe8
	s_sub_i32 s19, s19, s2
	s_mul_i32 s20, s3, 0xffffffe8
	s_mul_i32 s12, s2, 0xffffffe8
	s_add_i32 s19, s19, s20
	s_mul_hi_u32 s13, s3, s12
	s_mul_i32 s18, s3, s12
	s_mul_i32 s21, s2, s19
	s_mul_hi_u32 s12, s2, s12
	s_mul_hi_u32 s20, s2, s19
	s_add_u32 s12, s12, s21
	s_addc_u32 s20, 0, s20
	s_add_u32 s12, s12, s18
	s_mul_hi_u32 s21, s3, s19
	s_addc_u32 s12, s20, s13
	v_lshrrev_b32_e32 v5, 16, v1
	s_addc_u32 s13, s21, 0
	s_mul_i32 s18, s3, s19
	v_mov_b32_e32 v1, s33
	v_add_co_u32_e32 v14, vcc, s52, v5
	s_add_u32 s12, s12, s18
	v_addc_co_u32_e32 v13, vcc, 0, v1, vcc
	v_mov_b32_e32 v1, s12
	s_addc_u32 s13, 0, s13
	v_add_co_u32_e32 v3, vcc, s2, v1
	s_cmp_lg_u64 vcc, 0
	s_addc_u32 s12, s3, s13
	v_mad_u64_u32 v[1:2], s[2:3], v14, s12, 0
	v_mul_hi_u32 v4, v14, v3
	s_waitcnt lgkmcnt(0)
	s_barrier
	v_add_co_u32_e32 v15, vcc, v4, v1
	v_addc_co_u32_e32 v16, vcc, 0, v2, vcc
	v_mad_u64_u32 v[1:2], s[2:3], v13, v3, 0
	v_mad_u64_u32 v[3:4], s[2:3], v13, s12, 0
	v_add_co_u32_e32 v1, vcc, v15, v1
	v_addc_co_u32_e32 v1, vcc, v16, v2, vcc
	v_addc_co_u32_e32 v2, vcc, 0, v4, vcc
	v_add_co_u32_e32 v1, vcc, v1, v3
	v_addc_co_u32_e32 v3, vcc, 0, v2, vcc
	v_mad_u64_u32 v[1:2], s[2:3], v1, 24, 0
	v_mad_u64_u32 v[2:3], s[2:3], v3, 24, v[2:3]
	v_sub_co_u32_e32 v1, vcc, v14, v1
	v_subb_co_u32_e32 v2, vcc, v13, v2, vcc
	v_subrev_co_u32_e32 v3, vcc, 24, v1
	v_subbrev_co_u32_e32 v4, vcc, 0, v2, vcc
	v_cmp_lt_u32_e32 vcc, 23, v3
	v_cndmask_b32_e64 v13, 0, -1, vcc
	v_cmp_eq_u32_e32 vcc, 0, v4
	v_cndmask_b32_e32 v4, -1, v13, vcc
	v_subrev_u32_e32 v13, 24, v3
	v_cmp_ne_u32_e32 vcc, 0, v4
	v_cndmask_b32_e32 v3, v3, v13, vcc
	v_cmp_lt_u32_e32 vcc, 23, v1
	v_cndmask_b32_e64 v4, 0, -1, vcc
	v_cmp_eq_u32_e32 vcc, 0, v2
	v_cndmask_b32_e32 v2, -1, v4, vcc
	v_cmp_ne_u32_e32 vcc, 0, v2
	v_cndmask_b32_e32 v1, v1, v3, vcc
	v_mul_lo_u16_e32 v2, 14, v5
	v_mul_u32_u24_e32 v1, 0x54, v1
	v_sub_u16_e32 v15, v0, v2
	v_lshlrev_b32_e32 v18, 2, v1
	v_lshlrev_b32_e32 v0, 2, v15
	v_add3_u32 v16, 0, v18, v0
	v_add_u32_e32 v19, 0, v0
	v_add_u32_e32 v13, v19, v18
	ds_read_b32 v17, v16
	ds_read2_b32 v[0:1], v13 offset0:12 offset1:24
	ds_read2_b32 v[2:3], v13 offset0:36 offset1:48
	;; [unrolled: 1-line block ×3, first 2 shown]
	v_cmp_gt_u16_e32 vcc, 12, v15
	s_waitcnt lgkmcnt(0)
	s_barrier
	s_and_saveexec_b64 s[2:3], vcc
	s_cbranch_execz .LBB0_16
; %bb.15:
	v_pk_add_f16 v20, v0, v5
	v_pk_add_f16 v22, v1, v4
	v_mul_u32_u24_e32 v23, 24, v15
	v_pk_add_f16 v21, v2, v3
	v_add3_u32 v19, v19, v23, v18
	v_pk_add_f16 v23, v22, v20
	s_mov_b32 s12, 0xffff
	v_pk_add_f16 v23, v21, v23
	v_bfi_b32 v24, s12, v20, v21
	v_bfi_b32 v25, s12, v21, v22
	v_bfi_b32 v26, s12, v21, v20
	v_bfi_b32 v21, s12, v22, v21
	v_pk_add_f16 v0, v0, v5 neg_lo:[0,1] neg_hi:[0,1]
	v_pk_add_f16 v2, v3, v2 neg_lo:[0,1] neg_hi:[0,1]
	;; [unrolled: 1-line block ×4, first 2 shown]
	s_mov_b32 s18, 0x3a522b26
	v_alignbit_b32 v5, v0, v2, 16
	v_alignbit_b32 v26, v2, v1, 16
	v_pk_add_f16 v24, v24, v25 neg_lo:[0,1] neg_hi:[0,1]
	s_mov_b32 s13, 0x2b263a52
	v_pk_mul_f16 v21, v21, s18
	v_alignbit_b32 v3, v2, v0, 16
	v_alignbit_b32 v4, v1, v2, 16
	v_pk_add_f16 v5, v5, v26 neg_lo:[0,1] neg_hi:[0,1]
	s_mov_b32 s18, 0x3574b846
	v_pk_mul_f16 v25, v24, s13
	v_pk_fma_f16 v24, v24, s13, v21
	v_pk_add_f16 v3, v3, v4 neg_lo:[0,1] neg_hi:[0,1]
	s_mov_b32 s13, 0xb8463574
	v_pk_mul_f16 v5, v5, s18
	v_pk_add_f16 v2, v2, v1
	v_pk_add_f16 v17, v17, v23
	v_pk_mul_f16 v4, v3, s13
	v_pk_fma_f16 v3, v3, s13, v5
	v_pk_add_f16 v2, v2, v0
	s_movk_i32 s13, 0x370e
	s_mov_b32 s18, 0xbcab
	v_pk_mul_f16 v26, v2, s13 op_sel_hi:[1,0]
	v_pk_fma_f16 v23, v23, s18, v17 op_sel_hi:[1,0,1]
	v_pk_add_f16 v3, v26, v3 op_sel:[1,0] op_sel_hi:[0,1]
	v_pk_add_f16 v24, v24, v23
	v_pk_add_f16 v26, v24, v3
	v_pk_add_f16 v3, v24, v3 neg_lo:[0,1] neg_hi:[0,1]
	v_pk_add_f16 v0, v1, v0 neg_lo:[0,1] neg_hi:[0,1]
	v_alignbit_b32 v1, v4, v5, 16
	s_movk_i32 s19, 0x3b00
	v_alignbit_b32 v4, v5, v4, 16
	v_bfi_b32 v24, s12, v26, v3
	v_pk_fma_f16 v1, v0, s19, v1 op_sel_hi:[1,0,1] neg_lo:[1,0,1] neg_hi:[1,0,1]
	v_pk_fma_f16 v0, v0, s19, v4 op_sel_hi:[1,0,1] neg_lo:[0,0,1] neg_hi:[0,0,1]
	ds_write2_b32 v19, v17, v24 offset1:1
	v_pk_add_f16 v17, v22, v20 neg_lo:[0,1] neg_hi:[0,1]
	v_bfi_b32 v20, s12, v25, v21
	s_movk_i32 s18, 0x39e0
	v_pk_fma_f16 v1, v2, s13, v1 op_sel_hi:[1,0,1]
	v_pk_fma_f16 v0, v2, s13, v0 op_sel_hi:[1,0,1]
	v_bfi_b32 v2, s12, v21, v25
	v_pk_fma_f16 v20, v17, s18, v20 op_sel_hi:[1,0,1] neg_lo:[1,0,1] neg_hi:[1,0,1]
	v_pk_fma_f16 v2, v17, s18, v2 op_sel_hi:[1,0,1] neg_lo:[0,0,1] neg_hi:[0,0,1]
	v_pk_add_f16 v20, v20, v23
	v_pk_add_f16 v2, v2, v23
	v_pk_add_f16 v22, v20, v1 op_sel:[0,1] op_sel_hi:[1,0]
	v_pk_add_f16 v1, v20, v1 op_sel:[0,1] op_sel_hi:[1,0] neg_lo:[0,1] neg_hi:[0,1]
	v_pk_add_f16 v4, v2, v0 op_sel:[0,1] op_sel_hi:[1,0] neg_lo:[0,1] neg_hi:[0,1]
	v_pk_add_f16 v0, v2, v0 op_sel:[0,1] op_sel_hi:[1,0]
	v_bfi_b32 v20, s12, v22, v1
	v_bfi_b32 v2, s12, v4, v0
	;; [unrolled: 1-line block ×4, first 2 shown]
	ds_write2_b32 v19, v0, v1 offset0:4 offset1:5
	v_bfi_b32 v0, s12, v3, v26
	ds_write2_b32 v19, v20, v2 offset0:2 offset1:3
	ds_write_b32 v19, v0 offset:24
.LBB0_16:
	s_or_b64 exec, exec, s[2:3]
	v_add_u32_e32 v0, -7, v15
	v_cmp_gt_u16_e32 vcc, 7, v15
	v_cndmask_b32_e32 v0, v0, v15, vcc
	v_mov_b32_e32 v1, 0
	v_lshlrev_b64 v[1:2], 2, v[0:1]
	v_mov_b32_e32 v3, s27
	v_add_co_u32_e32 v1, vcc, s26, v1
	v_add_u32_e32 v17, 14, v15
	v_addc_co_u32_e32 v2, vcc, v3, v2, vcc
	v_mov_b32_e32 v3, 37
	v_mul_lo_u16_sdwa v4, v17, v3 dst_sel:DWORD dst_unused:UNUSED_PAD src0_sel:BYTE_0 src1_sel:DWORD
	v_sub_u16_sdwa v19, v17, v4 dst_sel:DWORD dst_unused:UNUSED_PAD src0_sel:DWORD src1_sel:BYTE_1
	v_lshrrev_b16_e32 v19, 1, v19
	v_and_b32_e32 v19, 0x7f, v19
	v_add_u16_sdwa v4, v19, v4 dst_sel:DWORD dst_unused:UNUSED_PAD src0_sel:DWORD src1_sel:BYTE_1
	v_add_u32_e32 v5, 28, v15
	v_lshrrev_b16_e32 v21, 2, v4
	v_mul_lo_u16_e32 v4, 7, v21
	v_mul_lo_u16_sdwa v3, v5, v3 dst_sel:DWORD dst_unused:UNUSED_PAD src0_sel:BYTE_0 src1_sel:DWORD
	v_sub_u16_e32 v19, v17, v4
	v_sub_u16_sdwa v4, v5, v3 dst_sel:DWORD dst_unused:UNUSED_PAD src0_sel:DWORD src1_sel:BYTE_1
	v_lshrrev_b16_e32 v4, 1, v4
	v_and_b32_e32 v4, 0x7f, v4
	v_add_u16_sdwa v3, v4, v3 dst_sel:DWORD dst_unused:UNUSED_PAD src0_sel:DWORD src1_sel:BYTE_1
	s_load_dwordx2 s[2:3], s[6:7], 0x0
	s_waitcnt lgkmcnt(0)
	s_barrier
	v_lshrrev_b16_e32 v3, 2, v3
	global_load_dword v22, v[1:2], off
	v_mul_lo_u16_e32 v1, 7, v3
	v_sub_u16_e32 v1, v5, v1
	v_mov_b32_e32 v4, 2
	v_lshlrev_b32_sdwa v24, v4, v1 dst_sel:DWORD dst_unused:UNUSED_PAD src0_sel:DWORD src1_sel:BYTE_0
	v_lshlrev_b32_sdwa v23, v4, v19 dst_sel:DWORD dst_unused:UNUSED_PAD src0_sel:DWORD src1_sel:BYTE_0
	global_load_dword v25, v24, s[26:27]
	global_load_dword v26, v23, s[26:27]
	v_cmp_lt_u16_e32 vcc, 6, v15
	ds_read2_b32 v[1:2], v13 offset0:42 offset1:56
	ds_read2_b32 v[19:20], v13 offset0:14 offset1:28
	ds_read_b32 v27, v16
	ds_read_b32 v28, v13 offset:280
	v_cndmask_b32_e64 v30, 0, 56, vcc
	v_add_u32_e32 v30, 0, v30
	v_lshlrev_b32_e32 v0, 2, v0
	v_mad_u32_u24 v21, v21, 56, 0
	v_mad_u32_u24 v3, v3, 56, 0
	v_add3_u32 v0, v30, v0, v18
	v_add3_u32 v21, v21, v23, v18
	;; [unrolled: 1-line block ×3, first 2 shown]
	s_mov_b32 s6, 0xffff
	s_waitcnt vmcnt(0) lgkmcnt(0)
	s_barrier
	v_mul_u32_u24_e32 v29, 5, v15
	v_lshlrev_b32_e32 v29, 2, v29
	v_mul_lo_u32 v5, v14, v5
	s_movk_i32 s7, 0x3aee
	v_pk_mul_f16 v18, v22, v1 op_sel:[0,1]
	v_pk_fma_f16 v23, v22, v1, v18 op_sel:[0,0,1] op_sel_hi:[1,1,0] neg_lo:[0,0,1] neg_hi:[0,0,1]
	v_pk_fma_f16 v1, v22, v1, v18 op_sel:[0,0,1] op_sel_hi:[1,0,0]
	v_bfi_b32 v1, s6, v23, v1
	v_pk_add_f16 v1, v27, v1 neg_lo:[0,1] neg_hi:[0,1]
	v_pk_fma_f16 v18, v27, 2.0, v1 op_sel_hi:[1,0,1] neg_lo:[0,0,1] neg_hi:[0,0,1]
	v_pk_mul_f16 v22, v25, v28 op_sel:[0,1]
	v_pk_mul_f16 v23, v26, v2 op_sel:[0,1]
	ds_write2_b32 v0, v18, v1 offset1:7
	v_pk_fma_f16 v0, v25, v28, v22 op_sel:[0,0,1] op_sel_hi:[1,1,0] neg_lo:[0,0,1] neg_hi:[0,0,1]
	v_pk_fma_f16 v1, v25, v28, v22 op_sel:[0,0,1] op_sel_hi:[1,0,0]
	v_pk_fma_f16 v18, v26, v2, v23 op_sel:[0,0,1] op_sel_hi:[1,1,0] neg_lo:[0,0,1] neg_hi:[0,0,1]
	v_pk_fma_f16 v2, v26, v2, v23 op_sel:[0,0,1] op_sel_hi:[1,0,0]
	v_bfi_b32 v0, s6, v0, v1
	v_bfi_b32 v1, s6, v18, v2
	v_pk_add_f16 v0, v20, v0 neg_lo:[0,1] neg_hi:[0,1]
	v_pk_add_f16 v1, v19, v1 neg_lo:[0,1] neg_hi:[0,1]
	v_pk_fma_f16 v2, v20, 2.0, v0 op_sel_hi:[1,0,1] neg_lo:[0,0,1] neg_hi:[0,0,1]
	v_pk_fma_f16 v18, v19, 2.0, v1 op_sel_hi:[1,0,1] neg_lo:[0,0,1] neg_hi:[0,0,1]
	ds_write2_b32 v21, v18, v1 offset1:7
	ds_write2_b32 v3, v2, v0 offset1:7
	s_waitcnt lgkmcnt(0)
	s_barrier
	global_load_dwordx4 v[0:3], v29, s[26:27] offset:28
	global_load_dword v19, v29, s[26:27] offset:44
	v_mul_lo_u32 v22, v14, v15
	v_mul_lo_u32 v23, v14, v17
	s_mov_b32 s6, 0xbaee
	v_lshlrev_b32_sdwa v21, v4, v22 dst_sel:DWORD dst_unused:UNUSED_PAD src0_sel:DWORD src1_sel:BYTE_0
	v_lshlrev_b32_sdwa v24, v4, v22 dst_sel:DWORD dst_unused:UNUSED_PAD src0_sel:DWORD src1_sel:BYTE_1
	v_lshlrev_b32_sdwa v25, v4, v23 dst_sel:DWORD dst_unused:UNUSED_PAD src0_sel:DWORD src1_sel:BYTE_0
	global_load_dword v17, v21, s[16:17]
	global_load_dword v18, v24, s[16:17] offset:1024
	global_load_dword v20, v25, s[16:17]
	v_lshlrev_b32_sdwa v21, v4, v23 dst_sel:DWORD dst_unused:UNUSED_PAD src0_sel:DWORD src1_sel:BYTE_1
	global_load_dword v21, v21, s[16:17] offset:1024
	v_lshlrev_b32_sdwa v23, v4, v23 dst_sel:DWORD dst_unused:UNUSED_PAD src0_sel:DWORD src1_sel:BYTE_2
	v_lshlrev_b32_sdwa v22, v4, v22 dst_sel:DWORD dst_unused:UNUSED_PAD src0_sel:DWORD src1_sel:BYTE_2
	v_lshlrev_b32_sdwa v24, v4, v5 dst_sel:DWORD dst_unused:UNUSED_PAD src0_sel:DWORD src1_sel:BYTE_0
	v_lshlrev_b32_sdwa v25, v4, v5 dst_sel:DWORD dst_unused:UNUSED_PAD src0_sel:DWORD src1_sel:BYTE_1
	global_load_dword v26, v23, s[16:17] offset:2048
	global_load_dword v27, v24, s[16:17]
	global_load_dword v28, v25, s[16:17] offset:1024
	global_load_dword v29, v22, s[16:17] offset:2048
	v_add_u32_e32 v22, 42, v15
	v_add_u32_e32 v24, 56, v15
	v_mul_lo_u32 v30, v14, v22
	ds_read2_b32 v[22:23], v13 offset0:14 offset1:28
	v_mul_lo_u32 v31, v14, v24
	ds_read2_b32 v[24:25], v13 offset0:42 offset1:56
	v_lshlrev_b32_sdwa v5, v4, v5 dst_sel:DWORD dst_unused:UNUSED_PAD src0_sel:DWORD src1_sel:BYTE_2
	global_load_dword v5, v5, s[16:17] offset:2048
	s_waitcnt lgkmcnt(1)
	v_lshrrev_b32_e32 v33, 16, v22
	v_lshrrev_b32_e32 v34, 16, v23
	s_waitcnt lgkmcnt(0)
	v_lshrrev_b32_e32 v35, 16, v24
	v_lshrrev_b32_e32 v36, 16, v25
	v_lshlrev_b32_sdwa v32, v4, v30 dst_sel:DWORD dst_unused:UNUSED_PAD src0_sel:DWORD src1_sel:BYTE_0
	v_add_u32_e32 v15, 0x46, v15
	v_mul_lo_u32 v14, v14, v15
	ds_read_b32 v16, v16
	s_waitcnt vmcnt(10)
	v_mul_f16_sdwa v37, v0, v33 dst_sel:DWORD dst_unused:UNUSED_PAD src0_sel:WORD_1 src1_sel:DWORD
	v_mul_f16_sdwa v41, v2, v35 dst_sel:DWORD dst_unused:UNUSED_PAD src0_sel:WORD_1 src1_sel:DWORD
	;; [unrolled: 1-line block ×3, first 2 shown]
	v_fma_f16 v22, v0, v22, -v37
	v_mul_f16_sdwa v37, v2, v24 dst_sel:DWORD dst_unused:UNUSED_PAD src0_sel:WORD_1 src1_sel:DWORD
	v_fma_f16 v24, v2, v24, -v41
	ds_read_b32 v41, v13 offset:280
	v_mul_f16_sdwa v39, v1, v34 dst_sel:DWORD dst_unused:UNUSED_PAD src0_sel:WORD_1 src1_sel:DWORD
	v_mul_f16_sdwa v40, v1, v23 dst_sel:DWORD dst_unused:UNUSED_PAD src0_sel:WORD_1 src1_sel:DWORD
	;; [unrolled: 1-line block ×3, first 2 shown]
	v_fma_f16 v23, v1, v23, -v39
	v_mul_f16_sdwa v39, v3, v25 dst_sel:DWORD dst_unused:UNUSED_PAD src0_sel:WORD_1 src1_sel:DWORD
	v_fma_f16 v0, v0, v33, v38
	s_waitcnt lgkmcnt(0)
	v_lshrrev_b32_e32 v33, 16, v41
	v_fma_f16 v25, v3, v25, -v42
	v_fma_f16 v2, v2, v35, v37
	s_waitcnt vmcnt(9)
	v_mul_f16_sdwa v35, v19, v33 dst_sel:DWORD dst_unused:UNUSED_PAD src0_sel:WORD_1 src1_sel:DWORD
	v_fma_f16 v3, v3, v36, v39
	v_mul_f16_sdwa v36, v19, v41 dst_sel:DWORD dst_unused:UNUSED_PAD src0_sel:WORD_1 src1_sel:DWORD
	s_waitcnt vmcnt(8)
	v_lshrrev_b32_e32 v37, 16, v17
	s_waitcnt vmcnt(7)
	v_mul_f16_sdwa v38, v17, v18 dst_sel:DWORD dst_unused:UNUSED_PAD src0_sel:DWORD src1_sel:WORD_1
	s_waitcnt vmcnt(6)
	v_lshrrev_b32_e32 v39, 16, v20
	v_fma_f16 v1, v1, v34, v40
	v_lshrrev_b32_e32 v34, 16, v16
	s_waitcnt vmcnt(5)
	v_mul_f16_sdwa v40, v20, v21 dst_sel:DWORD dst_unused:UNUSED_PAD src0_sel:DWORD src1_sel:WORD_1
	v_fma_f16 v35, v19, v41, -v35
	v_fma_f16 v19, v19, v33, v36
	v_fma_f16 v33, v37, v18, v38
	v_mul_f16_sdwa v36, v37, v18 dst_sel:DWORD dst_unused:UNUSED_PAD src0_sel:DWORD src1_sel:WORD_1
	v_mul_f16_sdwa v38, v39, v21 dst_sel:DWORD dst_unused:UNUSED_PAD src0_sel:DWORD src1_sel:WORD_1
	v_fma_f16 v37, v39, v21, v40
	v_fma_f16 v17, v17, v18, -v36
	v_fma_f16 v18, v20, v21, -v38
	v_add_f16_e32 v21, v34, v1
	v_lshlrev_b32_sdwa v42, v4, v30 dst_sel:DWORD dst_unused:UNUSED_PAD src0_sel:DWORD src1_sel:BYTE_1
	v_sub_f16_e32 v40, v1, v3
	v_add_f16_e32 v1, v1, v3
	v_add_f16_e32 v3, v21, v3
	global_load_dword v21, v32, s[16:17]
	global_load_dword v43, v42, s[16:17] offset:1024
	v_lshlrev_b32_sdwa v30, v4, v30 dst_sel:DWORD dst_unused:UNUSED_PAD src0_sel:DWORD src1_sel:BYTE_2
	global_load_dword v30, v30, s[16:17] offset:2048
	v_add_f16_e32 v20, v16, v23
	v_add_f16_e32 v38, v0, v2
	;; [unrolled: 1-line block ×3, first 2 shown]
	v_sub_f16_e32 v23, v23, v25
	v_add_f16_e32 v20, v20, v25
	v_sub_f16_e32 v25, v2, v19
	v_add_f16_e32 v2, v2, v19
	v_add_f16_e32 v19, v38, v19
	v_lshlrev_b32_sdwa v38, v4, v31 dst_sel:DWORD dst_unused:UNUSED_PAD src0_sel:DWORD src1_sel:BYTE_0
	v_fma_f16 v16, v39, -0.5, v16
	v_lshlrev_b32_sdwa v39, v4, v31 dst_sel:DWORD dst_unused:UNUSED_PAD src0_sel:DWORD src1_sel:BYTE_1
	global_load_dword v42, v38, s[16:17]
	global_load_dword v44, v39, s[16:17] offset:1024
	v_lshlrev_b32_sdwa v31, v4, v31 dst_sel:DWORD dst_unused:UNUSED_PAD src0_sel:DWORD src1_sel:BYTE_2
	global_load_dword v31, v31, s[16:17] offset:2048
	s_waitcnt vmcnt(7)
	v_mul_f16_sdwa v32, v33, v29 dst_sel:DWORD dst_unused:UNUSED_PAD src0_sel:DWORD src1_sel:WORD_1
	v_fma_f16 v32, v29, v17, -v32
	v_mul_f16_sdwa v17, v17, v29 dst_sel:DWORD dst_unused:UNUSED_PAD src0_sel:DWORD src1_sel:WORD_1
	v_add_f16_e32 v41, v24, v35
	v_fma_f16 v0, v2, -0.5, v0
	v_fma_f16 v2, v29, v33, v17
	v_lshlrev_b32_sdwa v17, v4, v14 dst_sel:DWORD dst_unused:UNUSED_PAD src0_sel:DWORD src1_sel:BYTE_0
	v_add_f16_e32 v36, v22, v24
	v_fma_f16 v15, v41, -0.5, v22
	v_lshlrev_b32_sdwa v22, v4, v14 dst_sel:DWORD dst_unused:UNUSED_PAD src0_sel:DWORD src1_sel:BYTE_1
	global_load_dword v29, v17, s[16:17]
	global_load_dword v33, v22, s[16:17] offset:1024
	v_lshlrev_b32_sdwa v4, v4, v14 dst_sel:DWORD dst_unused:UNUSED_PAD src0_sel:DWORD src1_sel:BYTE_2
	global_load_dword v4, v4, s[16:17] offset:2048
	v_sub_f16_e32 v24, v24, v35
	v_add_f16_e32 v35, v36, v35
	v_mul_f16_sdwa v36, v37, v26 dst_sel:DWORD dst_unused:UNUSED_PAD src0_sel:DWORD src1_sel:WORD_1
	v_fma_f16 v36, v26, v18, -v36
	v_mul_f16_sdwa v18, v18, v26 dst_sel:DWORD dst_unused:UNUSED_PAD src0_sel:DWORD src1_sel:WORD_1
	v_fma_f16 v17, v26, v37, v18
	v_add_f16_e32 v18, v20, v35
	v_add_f16_e32 v14, v3, v19
	v_fma_f16 v22, v25, s7, v15
	v_fma_f16 v26, v24, s6, v0
	v_fma_f16 v1, v1, -0.5, v34
	v_mul_f16_e32 v34, v14, v2
	v_mul_f16_e32 v2, v18, v2
	;; [unrolled: 1-line block ×4, first 2 shown]
	v_fma_f16 v18, v18, v32, -v34
	v_fma_f16 v2, v14, v32, v2
	v_fma_f16 v14, v22, 0.5, v37
	v_fma_f16 v22, v26, 0.5, v38
	v_fma_f16 v32, v23, s6, v1
	v_fma_f16 v26, v40, s7, v16
	v_add_f16_e32 v37, v32, v22
	v_add_f16_e32 v34, v26, v14
	v_mul_f16_e32 v38, v37, v17
	v_fma_f16 v38, v34, v36, -v38
	v_mul_f16_e32 v17, v34, v17
	v_lshrrev_b32_e32 v34, 16, v27
	v_fma_f16 v17, v37, v36, v17
	v_mul_f16_sdwa v36, v34, v28 dst_sel:DWORD dst_unused:UNUSED_PAD src0_sel:DWORD src1_sel:WORD_1
	v_fma_f16 v15, v25, s6, v15
	v_fma_f16 v36, v27, v28, -v36
	v_mul_f16_sdwa v27, v27, v28 dst_sel:DWORD dst_unused:UNUSED_PAD src0_sel:DWORD src1_sel:WORD_1
	v_fma_f16 v1, v23, s7, v1
	v_fma_f16 v0, v24, s7, v0
	v_mul_f16_e32 v23, -0.5, v15
	v_fma_f16 v27, v34, v28, v27
	v_fma_f16 v23, v0, s7, v23
	v_mul_f16_e32 v0, -0.5, v0
	s_waitcnt vmcnt(9)
	v_mul_f16_sdwa v28, v27, v5 dst_sel:DWORD dst_unused:UNUSED_PAD src0_sel:DWORD src1_sel:WORD_1
	v_mul_f16_sdwa v34, v36, v5 dst_sel:DWORD dst_unused:UNUSED_PAD src0_sel:DWORD src1_sel:WORD_1
	v_fma_f16 v0, v15, s6, v0
	v_fma_f16 v28, v5, v36, -v28
	v_fma_f16 v5, v5, v27, v34
	v_fma_f16 v16, v40, s6, v16
	v_sub_f16_e32 v3, v3, v19
	v_sub_f16_e32 v19, v32, v22
	v_add_f16_e32 v22, v1, v0
	v_sub_f16_e32 v15, v20, v35
	v_add_f16_e32 v20, v16, v23
	v_sub_f16_e32 v0, v1, v0
	v_mul_f16_e32 v1, v22, v5
	v_fma_f16 v1, v20, v28, -v1
	v_mul_f16_e32 v5, v20, v5
	s_waitcnt vmcnt(8)
	v_lshrrev_b32_e32 v20, 16, v21
	v_fma_f16 v5, v22, v28, v5
	s_waitcnt vmcnt(7)
	v_mul_f16_sdwa v22, v20, v43 dst_sel:DWORD dst_unused:UNUSED_PAD src0_sel:DWORD src1_sel:WORD_1
	v_fma_f16 v22, v21, v43, -v22
	v_mul_f16_sdwa v21, v21, v43 dst_sel:DWORD dst_unused:UNUSED_PAD src0_sel:DWORD src1_sel:WORD_1
	v_fma_f16 v20, v20, v43, v21
	s_waitcnt vmcnt(6)
	v_mul_f16_sdwa v21, v20, v30 dst_sel:DWORD dst_unused:UNUSED_PAD src0_sel:DWORD src1_sel:WORD_1
	v_fma_f16 v21, v30, v22, -v21
	v_mul_f16_sdwa v22, v22, v30 dst_sel:DWORD dst_unused:UNUSED_PAD src0_sel:DWORD src1_sel:WORD_1
	v_fma_f16 v20, v30, v20, v22
	v_mul_f16_e32 v22, v3, v20
	v_fma_f16 v22, v15, v21, -v22
	v_mul_f16_e32 v15, v15, v20
	v_fma_f16 v3, v3, v21, v15
	s_waitcnt vmcnt(5)
	v_lshrrev_b32_e32 v15, 16, v42
	s_waitcnt vmcnt(4)
	v_mul_f16_sdwa v21, v42, v44 dst_sel:DWORD dst_unused:UNUSED_PAD src0_sel:DWORD src1_sel:WORD_1
	v_mul_f16_sdwa v20, v15, v44 dst_sel:DWORD dst_unused:UNUSED_PAD src0_sel:DWORD src1_sel:WORD_1
	v_fma_f16 v15, v15, v44, v21
	v_fma_f16 v20, v42, v44, -v20
	s_waitcnt vmcnt(3)
	v_mul_f16_sdwa v21, v15, v31 dst_sel:DWORD dst_unused:UNUSED_PAD src0_sel:DWORD src1_sel:WORD_1
	v_fma_f16 v21, v31, v20, -v21
	v_mul_f16_sdwa v20, v20, v31 dst_sel:DWORD dst_unused:UNUSED_PAD src0_sel:DWORD src1_sel:WORD_1
	v_fma_f16 v15, v31, v15, v20
	v_sub_f16_e32 v14, v26, v14
	v_mul_f16_e32 v20, v19, v15
	v_fma_f16 v20, v14, v21, -v20
	v_mul_f16_e32 v14, v14, v15
	v_fma_f16 v14, v19, v21, v14
	s_waitcnt vmcnt(2)
	v_lshrrev_b32_e32 v15, 16, v29
	s_waitcnt vmcnt(1)
	v_mul_f16_sdwa v21, v29, v33 dst_sel:DWORD dst_unused:UNUSED_PAD src0_sel:DWORD src1_sel:WORD_1
	v_mul_f16_sdwa v19, v15, v33 dst_sel:DWORD dst_unused:UNUSED_PAD src0_sel:DWORD src1_sel:WORD_1
	v_fma_f16 v15, v15, v33, v21
	v_fma_f16 v19, v29, v33, -v19
	s_waitcnt vmcnt(0)
	v_mul_f16_sdwa v21, v15, v4 dst_sel:DWORD dst_unused:UNUSED_PAD src0_sel:DWORD src1_sel:WORD_1
	v_fma_f16 v21, v4, v19, -v21
	v_mul_f16_sdwa v19, v19, v4 dst_sel:DWORD dst_unused:UNUSED_PAD src0_sel:DWORD src1_sel:WORD_1
	v_sub_f16_e32 v16, v16, v23
	v_fma_f16 v4, v4, v15, v19
	v_mul_f16_e32 v15, v0, v4
	v_mul_f16_e32 v4, v16, v4
	v_fma_f16 v0, v0, v21, v4
	v_pack_b32_f16 v2, v18, v2
	v_pack_b32_f16 v4, v38, v17
	v_fma_f16 v15, v16, v21, -v15
	s_barrier
	ds_write2_b32 v13, v2, v4 offset1:14
	v_pack_b32_f16 v1, v1, v5
	v_pack_b32_f16 v2, v22, v3
	ds_write2_b32 v13, v1, v2 offset0:28 offset1:42
	v_pack_b32_f16 v1, v20, v14
	v_pack_b32_f16 v0, v15, v0
	ds_write2_b32 v13, v1, v0 offset0:56 offset1:70
	s_waitcnt lgkmcnt(0)
	s_barrier
	s_and_saveexec_b64 s[6:7], s[0:1]
	s_cbranch_execz .LBB0_18
; %bb.17:
	s_mul_i32 s0, s3, s24
	s_mul_hi_u32 s1, s2, s24
	s_add_i32 s1, s1, s0
	v_mad_u64_u32 v[0:1], s[6:7], s10, v11, 0
	s_mul_i32 s0, s2, s24
	v_mad_u64_u32 v[2:3], s[2:3], s8, v6, 0
	s_lshl_b64 s[0:1], s[0:1], 2
	v_mad_u64_u32 v[4:5], s[2:3], s11, v11, v[1:2]
	v_mov_b32_e32 v1, v3
	v_mad_u64_u32 v[13:14], s[2:3], s9, v6, v[1:2]
	s_add_u32 s2, s14, s0
	s_addc_u32 s3, s15, s1
	s_lshl_b64 s[0:1], s[4:5], 2
	s_add_u32 s2, s2, s0
	v_mov_b32_e32 v1, v4
	v_mul_u32_u24_e32 v4, 0x150, v11
	s_addc_u32 s0, s3, s1
	v_mov_b32_e32 v3, v13
	v_add3_u32 v13, 0, v4, v12
	v_mov_b32_e32 v11, s0
	v_mad_u64_u32 v[4:5], s[0:1], s8, v10, 0
	v_lshlrev_b64 v[0:1], 2, v[0:1]
	v_add_co_u32_e32 v14, vcc, s2, v0
	v_addc_co_u32_e32 v15, vcc, v11, v1, vcc
	v_lshlrev_b64 v[0:1], 2, v[2:3]
	ds_read2_b32 v[2:3], v13 offset1:14
	v_mad_u64_u32 v[10:11], s[0:1], s9, v10, v[5:6]
	v_add_co_u32_e32 v0, vcc, v14, v0
	v_addc_co_u32_e32 v1, vcc, v15, v1, vcc
	v_mov_b32_e32 v5, v10
	s_waitcnt lgkmcnt(0)
	global_store_dword v[0:1], v2, off
	v_lshlrev_b64 v[0:1], 2, v[4:5]
	v_mad_u64_u32 v[4:5], s[0:1], s8, v9, 0
	v_add_co_u32_e32 v0, vcc, v14, v0
	v_addc_co_u32_e32 v1, vcc, v15, v1, vcc
	global_store_dword v[0:1], v3, off
	v_mov_b32_e32 v0, v5
	v_mad_u64_u32 v[0:1], s[0:1], s9, v9, v[0:1]
	v_mad_u64_u32 v[1:2], s[0:1], s8, v8, 0
	v_mov_b32_e32 v5, v0
	ds_read2_b32 v[9:10], v13 offset0:28 offset1:42
	v_mov_b32_e32 v0, v2
	v_lshlrev_b64 v[3:4], 2, v[4:5]
	v_mad_u64_u32 v[11:12], s[0:1], s9, v8, v[0:1]
	v_add_co_u32_e32 v2, vcc, v14, v3
	v_addc_co_u32_e32 v3, vcc, v15, v4, vcc
	s_waitcnt lgkmcnt(0)
	global_store_dword v[2:3], v9, off
	v_mov_b32_e32 v2, v11
	v_lshlrev_b64 v[0:1], 2, v[1:2]
	v_mad_u64_u32 v[2:3], s[0:1], s8, v7, 0
	v_add_co_u32_e32 v0, vcc, v14, v0
	v_addc_co_u32_e32 v1, vcc, v15, v1, vcc
	global_store_dword v[0:1], v10, off
	v_mov_b32_e32 v0, v3
	v_mad_u64_u32 v[0:1], s[0:1], s9, v7, v[0:1]
	v_add_u32_e32 v6, 0x46, v6
	v_mad_u64_u32 v[4:5], s[0:1], s8, v6, 0
	v_mov_b32_e32 v3, v0
	ds_read2_b32 v[0:1], v13 offset0:56 offset1:70
	v_lshlrev_b64 v[2:3], 2, v[2:3]
	v_mad_u64_u32 v[5:6], s[0:1], s9, v6, v[5:6]
	v_add_co_u32_e32 v2, vcc, v14, v2
	v_addc_co_u32_e32 v3, vcc, v15, v3, vcc
	s_waitcnt lgkmcnt(0)
	global_store_dword v[2:3], v0, off
	v_lshlrev_b64 v[2:3], 2, v[4:5]
	v_add_co_u32_e32 v2, vcc, v14, v2
	v_addc_co_u32_e32 v3, vcc, v15, v3, vcc
	global_store_dword v[2:3], v1, off
.LBB0_18:
	s_endpgm
	.section	.rodata,"a",@progbits
	.p2align	6, 0x0
	.amdhsa_kernel fft_rtc_fwd_len84_factors_7_2_6_wgs_336_tpt_14_half_op_CI_CI_sbcc_twdbase8_3step
		.amdhsa_group_segment_fixed_size 0
		.amdhsa_private_segment_fixed_size 0
		.amdhsa_kernarg_size 112
		.amdhsa_user_sgpr_count 6
		.amdhsa_user_sgpr_private_segment_buffer 1
		.amdhsa_user_sgpr_dispatch_ptr 0
		.amdhsa_user_sgpr_queue_ptr 0
		.amdhsa_user_sgpr_kernarg_segment_ptr 1
		.amdhsa_user_sgpr_dispatch_id 0
		.amdhsa_user_sgpr_flat_scratch_init 0
		.amdhsa_user_sgpr_private_segment_size 0
		.amdhsa_uses_dynamic_stack 0
		.amdhsa_system_sgpr_private_segment_wavefront_offset 0
		.amdhsa_system_sgpr_workgroup_id_x 1
		.amdhsa_system_sgpr_workgroup_id_y 0
		.amdhsa_system_sgpr_workgroup_id_z 0
		.amdhsa_system_sgpr_workgroup_info 0
		.amdhsa_system_vgpr_workitem_id 0
		.amdhsa_next_free_vgpr 45
		.amdhsa_next_free_sgpr 57
		.amdhsa_reserve_vcc 1
		.amdhsa_reserve_flat_scratch 0
		.amdhsa_float_round_mode_32 0
		.amdhsa_float_round_mode_16_64 0
		.amdhsa_float_denorm_mode_32 3
		.amdhsa_float_denorm_mode_16_64 3
		.amdhsa_dx10_clamp 1
		.amdhsa_ieee_mode 1
		.amdhsa_fp16_overflow 0
		.amdhsa_exception_fp_ieee_invalid_op 0
		.amdhsa_exception_fp_denorm_src 0
		.amdhsa_exception_fp_ieee_div_zero 0
		.amdhsa_exception_fp_ieee_overflow 0
		.amdhsa_exception_fp_ieee_underflow 0
		.amdhsa_exception_fp_ieee_inexact 0
		.amdhsa_exception_int_div_zero 0
	.end_amdhsa_kernel
	.text
.Lfunc_end0:
	.size	fft_rtc_fwd_len84_factors_7_2_6_wgs_336_tpt_14_half_op_CI_CI_sbcc_twdbase8_3step, .Lfunc_end0-fft_rtc_fwd_len84_factors_7_2_6_wgs_336_tpt_14_half_op_CI_CI_sbcc_twdbase8_3step
                                        ; -- End function
	.section	.AMDGPU.csdata,"",@progbits
; Kernel info:
; codeLenInByte = 5596
; NumSgprs: 61
; NumVgprs: 45
; ScratchSize: 0
; MemoryBound: 0
; FloatMode: 240
; IeeeMode: 1
; LDSByteSize: 0 bytes/workgroup (compile time only)
; SGPRBlocks: 7
; VGPRBlocks: 11
; NumSGPRsForWavesPerEU: 61
; NumVGPRsForWavesPerEU: 45
; Occupancy: 5
; WaveLimiterHint : 1
; COMPUTE_PGM_RSRC2:SCRATCH_EN: 0
; COMPUTE_PGM_RSRC2:USER_SGPR: 6
; COMPUTE_PGM_RSRC2:TRAP_HANDLER: 0
; COMPUTE_PGM_RSRC2:TGID_X_EN: 1
; COMPUTE_PGM_RSRC2:TGID_Y_EN: 0
; COMPUTE_PGM_RSRC2:TGID_Z_EN: 0
; COMPUTE_PGM_RSRC2:TIDIG_COMP_CNT: 0
	.type	__hip_cuid_d5cd652b97dd02ba,@object ; @__hip_cuid_d5cd652b97dd02ba
	.section	.bss,"aw",@nobits
	.globl	__hip_cuid_d5cd652b97dd02ba
__hip_cuid_d5cd652b97dd02ba:
	.byte	0                               ; 0x0
	.size	__hip_cuid_d5cd652b97dd02ba, 1

	.ident	"AMD clang version 19.0.0git (https://github.com/RadeonOpenCompute/llvm-project roc-6.4.0 25133 c7fe45cf4b819c5991fe208aaa96edf142730f1d)"
	.section	".note.GNU-stack","",@progbits
	.addrsig
	.addrsig_sym __hip_cuid_d5cd652b97dd02ba
	.amdgpu_metadata
---
amdhsa.kernels:
  - .args:
      - .actual_access:  read_only
        .address_space:  global
        .offset:         0
        .size:           8
        .value_kind:     global_buffer
      - .address_space:  global
        .offset:         8
        .size:           8
        .value_kind:     global_buffer
      - .offset:         16
        .size:           8
        .value_kind:     by_value
      - .actual_access:  read_only
        .address_space:  global
        .offset:         24
        .size:           8
        .value_kind:     global_buffer
      - .actual_access:  read_only
        .address_space:  global
        .offset:         32
        .size:           8
        .value_kind:     global_buffer
      - .actual_access:  read_only
        .address_space:  global
        .offset:         40
        .size:           8
        .value_kind:     global_buffer
      - .offset:         48
        .size:           8
        .value_kind:     by_value
      - .actual_access:  read_only
        .address_space:  global
        .offset:         56
        .size:           8
        .value_kind:     global_buffer
      - .actual_access:  read_only
        .address_space:  global
        .offset:         64
        .size:           8
        .value_kind:     global_buffer
      - .offset:         72
        .size:           4
        .value_kind:     by_value
      - .actual_access:  read_only
        .address_space:  global
        .offset:         80
        .size:           8
        .value_kind:     global_buffer
      - .actual_access:  read_only
        .address_space:  global
        .offset:         88
        .size:           8
        .value_kind:     global_buffer
      - .actual_access:  read_only
        .address_space:  global
        .offset:         96
        .size:           8
        .value_kind:     global_buffer
      - .actual_access:  write_only
        .address_space:  global
        .offset:         104
        .size:           8
        .value_kind:     global_buffer
    .group_segment_fixed_size: 0
    .kernarg_segment_align: 8
    .kernarg_segment_size: 112
    .language:       OpenCL C
    .language_version:
      - 2
      - 0
    .max_flat_workgroup_size: 336
    .name:           fft_rtc_fwd_len84_factors_7_2_6_wgs_336_tpt_14_half_op_CI_CI_sbcc_twdbase8_3step
    .private_segment_fixed_size: 0
    .sgpr_count:     61
    .sgpr_spill_count: 0
    .symbol:         fft_rtc_fwd_len84_factors_7_2_6_wgs_336_tpt_14_half_op_CI_CI_sbcc_twdbase8_3step.kd
    .uniform_work_group_size: 1
    .uses_dynamic_stack: false
    .vgpr_count:     45
    .vgpr_spill_count: 0
    .wavefront_size: 64
amdhsa.target:   amdgcn-amd-amdhsa--gfx906
amdhsa.version:
  - 1
  - 2
...

	.end_amdgpu_metadata
